;; amdgpu-corpus repo=ROCm/rocFFT kind=compiled arch=gfx906 opt=O3
	.text
	.amdgcn_target "amdgcn-amd-amdhsa--gfx906"
	.amdhsa_code_object_version 6
	.protected	bluestein_single_fwd_len420_dim1_sp_op_CI_CI ; -- Begin function bluestein_single_fwd_len420_dim1_sp_op_CI_CI
	.globl	bluestein_single_fwd_len420_dim1_sp_op_CI_CI
	.p2align	8
	.type	bluestein_single_fwd_len420_dim1_sp_op_CI_CI,@function
bluestein_single_fwd_len420_dim1_sp_op_CI_CI: ; @bluestein_single_fwd_len420_dim1_sp_op_CI_CI
; %bb.0:
	s_load_dwordx4 s[0:3], s[4:5], 0x28
	v_mul_u32_u24_e32 v1, 0x445, v0
	v_add_u32_sdwa v59, s6, v1 dst_sel:DWORD dst_unused:UNUSED_PAD src0_sel:DWORD src1_sel:WORD_1
	v_mov_b32_e32 v60, 0
	s_waitcnt lgkmcnt(0)
	v_cmp_gt_u64_e32 vcc, s[0:1], v[59:60]
	s_and_saveexec_b64 s[0:1], vcc
	s_cbranch_execz .LBB0_23
; %bb.1:
	s_load_dwordx2 s[14:15], s[4:5], 0x0
	s_load_dwordx2 s[12:13], s[4:5], 0x38
	v_mov_b32_e32 v2, 60
	v_mul_lo_u16_sdwa v1, v1, v2 dst_sel:DWORD dst_unused:UNUSED_PAD src0_sel:WORD_1 src1_sel:DWORD
	v_sub_u16_e32 v65, v0, v1
	v_cmp_gt_u16_e32 vcc, 42, v65
	v_lshlrev_b32_e32 v64, 3, v65
	s_and_saveexec_b64 s[6:7], vcc
	s_cbranch_execz .LBB0_3
; %bb.2:
	s_load_dwordx2 s[0:1], s[4:5], 0x18
	s_waitcnt lgkmcnt(0)
	s_load_dwordx4 s[8:11], s[0:1], 0x0
	s_waitcnt lgkmcnt(0)
	v_mad_u64_u32 v[0:1], s[0:1], s10, v59, 0
	v_mad_u64_u32 v[2:3], s[0:1], s8, v65, 0
	;; [unrolled: 1-line block ×4, first 2 shown]
	v_mov_b32_e32 v1, v4
	v_lshlrev_b64 v[0:1], 3, v[0:1]
	v_mov_b32_e32 v3, v5
	v_mov_b32_e32 v6, s3
	v_lshlrev_b64 v[2:3], 3, v[2:3]
	v_add_co_u32_e64 v0, s[0:1], s2, v0
	v_addc_co_u32_e64 v1, s[0:1], v6, v1, s[0:1]
	v_add_co_u32_e64 v0, s[0:1], v0, v2
	v_addc_co_u32_e64 v1, s[0:1], v1, v3, s[0:1]
	s_mul_i32 s0, s9, 0x150
	s_mul_hi_u32 s1, s8, 0x150
	s_mul_i32 s2, s8, 0x150
	s_add_i32 s0, s1, s0
	global_load_dwordx2 v[2:3], v[0:1], off
	global_load_dwordx2 v[4:5], v64, s[14:15]
	global_load_dwordx2 v[6:7], v64, s[14:15] offset:336
	global_load_dwordx2 v[8:9], v64, s[14:15] offset:672
	;; [unrolled: 1-line block ×7, first 2 shown]
	v_mov_b32_e32 v20, s0
	v_mov_b32_e32 v21, s0
	;; [unrolled: 1-line block ×9, first 2 shown]
	v_add_co_u32_e64 v0, s[0:1], s2, v0
	v_addc_co_u32_e64 v1, s[0:1], v1, v20, s[0:1]
	v_add_co_u32_e64 v20, s[0:1], s2, v0
	v_addc_co_u32_e64 v21, s[0:1], v1, v21, s[0:1]
	;; [unrolled: 2-line block ×3, first 2 shown]
	global_load_dwordx2 v[0:1], v[0:1], off
	s_nop 0
	global_load_dwordx2 v[24:25], v[20:21], off
	global_load_dwordx2 v[26:27], v[22:23], off
	v_add_co_u32_e64 v20, s[0:1], s2, v22
	v_addc_co_u32_e64 v21, s[0:1], v23, v28, s[0:1]
	global_load_dwordx2 v[22:23], v[20:21], off
	v_add_co_u32_e64 v20, s[0:1], s2, v20
	v_addc_co_u32_e64 v21, s[0:1], v21, v29, s[0:1]
	global_load_dwordx2 v[28:29], v[20:21], off
	v_add_co_u32_e64 v20, s[0:1], s2, v20
	v_addc_co_u32_e64 v21, s[0:1], v21, v30, s[0:1]
	global_load_dwordx2 v[30:31], v[20:21], off
	v_add_co_u32_e64 v20, s[0:1], s2, v20
	v_addc_co_u32_e64 v21, s[0:1], v21, v32, s[0:1]
	global_load_dwordx2 v[32:33], v[20:21], off
	v_add_co_u32_e64 v20, s[0:1], s2, v20
	v_addc_co_u32_e64 v21, s[0:1], v21, v34, s[0:1]
	global_load_dwordx2 v[34:35], v[20:21], off
	global_load_dwordx2 v[36:37], v64, s[14:15] offset:2688
	v_add_co_u32_e64 v20, s[0:1], s2, v20
	v_addc_co_u32_e64 v21, s[0:1], v21, v38, s[0:1]
	global_load_dwordx2 v[38:39], v64, s[14:15] offset:3024
	global_load_dwordx2 v[40:41], v[20:21], off
	s_waitcnt vmcnt(18)
	v_mul_f32_e32 v21, v2, v5
	v_mul_f32_e32 v20, v3, v5
	v_fma_f32 v21, v3, v4, -v21
	v_fmac_f32_e32 v20, v2, v4
	v_add_u32_e32 v4, 0x400, v64
	s_waitcnt vmcnt(10)
	v_mul_f32_e32 v3, v0, v7
	v_mul_f32_e32 v2, v1, v7
	v_fma_f32 v3, v1, v6, -v3
	v_fmac_f32_e32 v2, v0, v6
	s_waitcnt vmcnt(9)
	v_mul_f32_e32 v0, v25, v9
	v_mul_f32_e32 v1, v24, v9
	ds_write2_b64 v64, v[20:21], v[2:3] offset1:42
	s_waitcnt vmcnt(8)
	v_mul_f32_e32 v2, v27, v11
	v_mul_f32_e32 v3, v26, v11
	v_fmac_f32_e32 v0, v24, v8
	v_fma_f32 v1, v25, v8, -v1
	v_fmac_f32_e32 v2, v26, v10
	v_fma_f32 v3, v27, v10, -v3
	ds_write2_b64 v64, v[0:1], v[2:3] offset0:84 offset1:126
	s_waitcnt vmcnt(7)
	v_mul_f32_e32 v0, v23, v13
	v_mul_f32_e32 v1, v22, v13
	s_waitcnt vmcnt(6)
	v_mul_f32_e32 v2, v29, v15
	v_mul_f32_e32 v3, v28, v15
	v_fmac_f32_e32 v0, v22, v12
	v_fma_f32 v1, v23, v12, -v1
	v_fmac_f32_e32 v2, v28, v14
	v_fma_f32 v3, v29, v14, -v3
	ds_write2_b64 v64, v[0:1], v[2:3] offset0:168 offset1:210
	s_waitcnt vmcnt(5)
	v_mul_f32_e32 v0, v31, v17
	v_mul_f32_e32 v1, v30, v17
	;; [unrolled: 11-line block ×3, first 2 shown]
	s_waitcnt vmcnt(0)
	v_mul_f32_e32 v2, v41, v39
	v_mul_f32_e32 v3, v40, v39
	v_fmac_f32_e32 v0, v34, v36
	v_fma_f32 v1, v35, v36, -v1
	v_fmac_f32_e32 v2, v40, v38
	v_fma_f32 v3, v41, v38, -v3
	v_add_u32_e32 v4, 0x800, v64
	ds_write2_b64 v4, v[0:1], v[2:3] offset0:80 offset1:122
.LBB0_3:
	s_or_b64 exec, exec, s[6:7]
	s_load_dwordx2 s[0:1], s[4:5], 0x20
	s_load_dwordx2 s[2:3], s[4:5], 0x8
	s_waitcnt lgkmcnt(0)
	; wave barrier
	s_waitcnt lgkmcnt(0)
                                        ; implicit-def: $vgpr2
                                        ; implicit-def: $vgpr6
                                        ; implicit-def: $vgpr12
                                        ; implicit-def: $vgpr16
                                        ; implicit-def: $vgpr10
	s_and_saveexec_b64 s[4:5], vcc
	s_cbranch_execz .LBB0_5
; %bb.4:
	ds_read2_b64 v[8:11], v64 offset1:42
	ds_read2_b64 v[0:3], v64 offset0:84 offset1:126
	ds_read2_b64 v[4:7], v64 offset0:168 offset1:210
	v_add_u32_e32 v12, 0x400, v64
	v_add_u32_e32 v16, 0x800, v64
	ds_read2_b64 v[12:15], v12 offset0:124 offset1:166
	ds_read2_b64 v[16:19], v16 offset0:80 offset1:122
.LBB0_5:
	s_or_b64 exec, exec, s[4:5]
	s_waitcnt lgkmcnt(0)
	v_sub_f32_e32 v32, v2, v6
	v_sub_f32_e32 v33, v18, v14
	v_add_f32_e32 v39, v32, v33
	v_add_f32_e32 v33, v2, v18
	v_fma_f32 v33, -0.5, v33, v10
	v_sub_f32_e32 v20, v0, v4
	v_sub_f32_e32 v21, v16, v12
	;; [unrolled: 1-line block ×5, first 2 shown]
	v_mov_b32_e32 v34, v33
	v_add_f32_e32 v26, v21, v20
	v_add_f32_e32 v20, v16, v0
	;; [unrolled: 1-line block ×3, first 2 shown]
	v_sub_f32_e32 v31, v3, v19
	v_fmac_f32_e32 v34, 0xbf737871, v38
	v_sub_f32_e32 v35, v6, v2
	v_sub_f32_e32 v36, v14, v18
	v_fmac_f32_e32 v33, 0x3f737871, v38
	v_fma_f32 v21, -0.5, v20, v8
	v_fmac_f32_e32 v34, 0x3f167918, v31
	v_add_f32_e32 v35, v35, v36
	v_fmac_f32_e32 v33, 0xbf167918, v31
	v_sub_f32_e32 v25, v5, v13
	v_mov_b32_e32 v20, v21
	v_fmac_f32_e32 v34, 0x3e9e377a, v35
	v_fmac_f32_e32 v33, 0x3e9e377a, v35
	v_sub_f32_e32 v35, v3, v7
	v_sub_f32_e32 v36, v19, v15
	;; [unrolled: 1-line block ×3, first 2 shown]
	v_fmac_f32_e32 v20, 0xbf737871, v25
	v_sub_f32_e32 v22, v4, v0
	v_sub_f32_e32 v23, v12, v16
	v_fmac_f32_e32 v21, 0x3f737871, v25
	v_add_f32_e32 v45, v35, v36
	v_add_f32_e32 v35, v3, v19
	v_fmac_f32_e32 v20, 0x3f167918, v24
	v_add_f32_e32 v22, v23, v22
	v_fmac_f32_e32 v21, 0xbf167918, v24
	v_fma_f32 v35, -0.5, v35, v11
	v_sub_f32_e32 v36, v7, v3
	v_sub_f32_e32 v37, v15, v19
	v_fmac_f32_e32 v20, 0x3e9e377a, v22
	v_fmac_f32_e32 v21, 0x3e9e377a, v22
	v_sub_f32_e32 v22, v1, v5
	v_sub_f32_e32 v23, v17, v13
	;; [unrolled: 1-line block ×3, first 2 shown]
	v_add_f32_e32 v36, v36, v37
	v_mov_b32_e32 v37, v35
	v_add_f32_e32 v29, v23, v22
	v_add_f32_e32 v22, v17, v1
	v_sub_f32_e32 v43, v2, v18
	v_fmac_f32_e32 v37, 0x3f737871, v44
	v_fma_f32 v23, -0.5, v22, v9
	v_fmac_f32_e32 v37, 0xbf167918, v43
	v_sub_f32_e32 v28, v4, v12
	v_mov_b32_e32 v22, v23
	v_fmac_f32_e32 v37, 0x3e9e377a, v36
	v_fmac_f32_e32 v35, 0xbf737871, v44
	v_sub_f32_e32 v27, v0, v16
	v_fmac_f32_e32 v22, 0x3f737871, v28
	v_fmac_f32_e32 v23, 0xbf737871, v28
	;; [unrolled: 1-line block ×3, first 2 shown]
	v_mul_f32_e32 v40, 0x3f737871, v37
	s_mov_b32 s4, 0x3f737871
	v_fmac_f32_e32 v22, 0xbf167918, v27
	v_fmac_f32_e32 v23, 0x3f167918, v27
	;; [unrolled: 1-line block ×4, first 2 shown]
	v_mul_f32_e32 v42, 0xbf737871, v34
	v_mul_f32_e32 v34, 0x3e9e377a, v33
	s_mov_b32 s6, 0xbf737871
	v_fmac_f32_e32 v22, 0x3e9e377a, v30
	v_fmac_f32_e32 v23, 0x3e9e377a, v30
	v_add_f32_e32 v30, v6, v14
	v_fma_f32 v41, v35, s4, -v34
	v_mul_f32_e32 v34, 0x3e9e377a, v35
	v_fma_f32 v30, -0.5, v30, v10
	v_fma_f32 v46, v33, s6, -v34
	v_add_f32_e32 v33, v7, v15
	v_mov_b32_e32 v32, v30
	v_fma_f32 v52, -0.5, v33, v11
	v_fmac_f32_e32 v32, 0xbf737871, v31
	v_mov_b32_e32 v33, v52
	v_fmac_f32_e32 v32, 0xbf167918, v38
	v_fmac_f32_e32 v33, 0x3f737871, v43
	;; [unrolled: 1-line block ×4, first 2 shown]
	s_mov_b32 s5, 0x3f167918
	v_fmac_f32_e32 v33, 0x3e9e377a, v45
	v_mul_f32_e32 v34, 0x3f4f1bbd, v32
	s_mov_b32 s7, 0xbf167918
	v_fma_f32 v47, v33, s5, -v34
	v_mul_f32_e32 v33, 0x3f4f1bbd, v33
	v_fma_f32 v49, v32, s7, -v33
	v_add_f32_e32 v32, v12, v4
	v_fma_f32 v51, -0.5, v32, v8
	v_add_f32_e32 v32, v13, v5
	v_fma_f32 v53, -0.5, v32, v9
	v_mov_b32_e32 v48, v51
	v_mov_b32_e32 v50, v53
	v_fmac_f32_e32 v48, 0xbf737871, v24
	v_fmac_f32_e32 v50, 0x3f737871, v27
	;; [unrolled: 1-line block ×7, first 2 shown]
	s_mov_b32 s6, 0x3f4f1bbd
	v_sub_f32_e32 v34, v21, v41
	v_sub_f32_e32 v36, v48, v47
	;; [unrolled: 1-line block ×6, first 2 shown]
	v_mul_lo_u16_e32 v66, 10, v65
	s_waitcnt lgkmcnt(0)
	; wave barrier
	s_and_saveexec_b64 s[4:5], vcc
	s_cbranch_execz .LBB0_7
; %bb.6:
	v_add_f32_e32 v1, v1, v9
	v_mul_f32_e32 v27, 0x3f737871, v27
	v_add_f32_e32 v1, v5, v1
	v_mul_f32_e32 v28, 0x3f167918, v28
	v_sub_f32_e32 v27, v53, v27
	v_add_f32_e32 v1, v13, v1
	v_add_f32_e32 v0, v0, v8
	v_mul_f32_e32 v29, 0x3e9e377a, v29
	v_mul_f32_e32 v31, 0x3f737871, v31
	;; [unrolled: 1-line block ×3, first 2 shown]
	v_sub_f32_e32 v27, v27, v28
	v_add_f32_e32 v9, v17, v1
	v_add_f32_e32 v1, v3, v11
	;; [unrolled: 1-line block ×3, first 2 shown]
	v_mul_f32_e32 v38, 0x3f167918, v38
	v_mul_f32_e32 v44, 0x3f167918, v44
	v_add_f32_e32 v27, v29, v27
	v_sub_f32_e32 v28, v52, v43
	v_add_f32_e32 v29, v31, v30
	v_add_f32_e32 v1, v7, v1
	;; [unrolled: 1-line block ×3, first 2 shown]
	v_mul_f32_e32 v24, 0x3f737871, v24
	v_mul_f32_e32 v39, 0x3e9e377a, v39
	v_mul_f32_e32 v45, 0x3e9e377a, v45
	v_sub_f32_e32 v28, v28, v44
	v_add_f32_e32 v29, v38, v29
	v_add_f32_e32 v1, v15, v1
	;; [unrolled: 1-line block ×4, first 2 shown]
	v_mul_f32_e32 v25, 0x3f167918, v25
	v_add_f32_e32 v28, v45, v28
	v_add_f32_e32 v29, v39, v29
	;; [unrolled: 1-line block ×5, first 2 shown]
	v_mul_f32_e32 v26, 0x3e9e377a, v26
	v_mul_f32_e32 v30, 0x3f167918, v29
	v_add_f32_e32 v1, v25, v1
	v_mul_f32_e32 v17, 0x3f167918, v28
	v_add_f32_e32 v0, v14, v0
	v_fma_f32 v38, v28, s6, -v30
	v_add_f32_e32 v15, v26, v1
	v_fmac_f32_e32 v17, 0x3f4f1bbd, v29
	v_add_f32_e32 v12, v18, v0
	v_sub_f32_e32 v3, v9, v13
	v_sub_f32_e32 v2, v8, v12
	v_add_f32_e32 v11, v27, v38
	v_add_f32_e32 v9, v13, v9
	;; [unrolled: 1-line block ×4, first 2 shown]
	v_lshlrev_b32_e32 v12, 3, v66
	v_sub_f32_e32 v31, v27, v38
	v_sub_f32_e32 v30, v15, v17
	v_add_f32_e32 v1, v50, v49
	v_add_f32_e32 v7, v23, v46
	;; [unrolled: 1-line block ×6, first 2 shown]
	ds_write_b128 v12, v[8:11]
	ds_write_b128 v12, v[4:7] offset:16
	ds_write_b128 v12, v[0:3] offset:32
	;; [unrolled: 1-line block ×4, first 2 shown]
.LBB0_7:
	s_or_b64 exec, exec, s[4:5]
	s_load_dwordx4 s[4:7], s[0:1], 0x0
	s_movk_i32 s0, 0xcd
	v_mul_lo_u16_sdwa v0, v65, s0 dst_sel:DWORD dst_unused:UNUSED_PAD src0_sel:BYTE_0 src1_sel:DWORD
	v_lshrrev_b16_e32 v11, 11, v0
	v_mul_lo_u16_e32 v0, 10, v11
	v_sub_u16_e32 v0, v65, v0
	v_and_b32_e32 v28, 0xff, v0
	v_mul_u32_u24_e32 v0, 6, v28
	v_lshlrev_b32_e32 v8, 3, v0
	s_waitcnt lgkmcnt(0)
	; wave barrier
	s_waitcnt lgkmcnt(0)
	global_load_dwordx4 v[12:15], v8, s[2:3]
	global_load_dwordx4 v[4:7], v8, s[2:3] offset:16
	global_load_dwordx4 v[0:3], v8, s[2:3] offset:32
	v_add_u32_e32 v8, 0x400, v64
	ds_read2_b64 v[16:19], v64 offset1:60
	ds_read2_b64 v[20:23], v64 offset0:120 offset1:180
	ds_read_b64 v[9:10], v64 offset:2880
	ds_read2_b64 v[24:27], v8 offset0:112 offset1:172
	s_mov_b32 s1, 0x3f3bfb3b
	s_mov_b32 s8, 0xbf3bfb3b
	;; [unrolled: 1-line block ×3, first 2 shown]
	v_mul_u32_u24_e32 v11, 0x46, v11
	v_add_lshl_u32 v67, v11, v28, 3
	v_add_u32_e32 v54, 0x800, v64
	s_waitcnt lgkmcnt(0)
	; wave barrier
	s_waitcnt lgkmcnt(0)
                                        ; implicit-def: $vgpr50
	s_waitcnt vmcnt(2) lgkmcnt(3)
	v_mul_f32_e32 v29, v19, v13
	v_mul_f32_e32 v30, v18, v13
	s_waitcnt lgkmcnt(2)
	v_mul_f32_e32 v31, v21, v15
	v_mul_f32_e32 v38, v20, v15
	s_waitcnt vmcnt(1)
	v_mul_f32_e32 v39, v23, v5
	s_waitcnt vmcnt(0) lgkmcnt(0)
	v_mul_f32_e32 v43, v27, v1
	v_mul_f32_e32 v44, v26, v1
	v_mul_f32_e32 v45, v10, v3
	v_mul_f32_e32 v46, v9, v3
	v_mul_f32_e32 v40, v22, v5
	v_mul_f32_e32 v41, v25, v7
	v_mul_f32_e32 v42, v24, v7
	v_fma_f32 v18, v18, v12, -v29
	v_fmac_f32_e32 v30, v19, v12
	v_fma_f32 v19, v20, v14, -v31
	v_fmac_f32_e32 v38, v21, v14
	v_fma_f32 v20, v22, v4, -v39
	v_fma_f32 v22, v26, v0, -v43
	v_fmac_f32_e32 v44, v27, v0
	v_fma_f32 v9, v9, v2, -v45
	v_fmac_f32_e32 v46, v10, v2
	v_fmac_f32_e32 v40, v23, v4
	v_fma_f32 v21, v24, v6, -v41
	v_fmac_f32_e32 v42, v25, v6
	v_add_f32_e32 v10, v18, v9
	v_add_f32_e32 v23, v30, v46
	;; [unrolled: 1-line block ×4, first 2 shown]
	v_sub_f32_e32 v9, v18, v9
	v_sub_f32_e32 v18, v30, v46
	;; [unrolled: 1-line block ×3, first 2 shown]
	v_add_f32_e32 v26, v20, v21
	v_add_f32_e32 v27, v40, v42
	v_sub_f32_e32 v20, v21, v20
	v_add_f32_e32 v29, v24, v10
	v_add_f32_e32 v30, v25, v23
	v_sub_f32_e32 v22, v38, v44
	v_sub_f32_e32 v21, v42, v40
	;; [unrolled: 1-line block ×8, first 2 shown]
	v_add_f32_e32 v39, v20, v19
	v_add_f32_e32 v26, v26, v29
	;; [unrolled: 1-line block ×3, first 2 shown]
	v_sub_f32_e32 v41, v20, v19
	v_sub_f32_e32 v42, v21, v22
	;; [unrolled: 1-line block ×4, first 2 shown]
	v_add_f32_e32 v29, v39, v9
	v_mul_f32_e32 v30, 0x3f4a47b2, v10
	v_mul_f32_e32 v39, 0x3d64c772, v24
	v_add_f32_e32 v9, v16, v26
	v_add_f32_e32 v10, v17, v27
	;; [unrolled: 1-line block ×3, first 2 shown]
	v_sub_f32_e32 v21, v18, v21
	v_sub_f32_e32 v22, v22, v18
	v_mul_f32_e32 v23, 0x3f4a47b2, v23
	v_mul_f32_e32 v41, 0xbf08b237, v41
	;; [unrolled: 1-line block ×3, first 2 shown]
	v_fma_f32 v16, v31, s1, -v39
	v_fma_f32 v31, v31, s8, -v30
	v_fmac_f32_e32 v30, 0x3d64c772, v24
	v_mov_b32_e32 v24, v9
	v_mov_b32_e32 v39, v10
	v_add_f32_e32 v18, v40, v18
	v_mul_f32_e32 v40, 0x3d64c772, v25
	v_mul_f32_e32 v43, 0x3f5ff5aa, v19
	;; [unrolled: 1-line block ×3, first 2 shown]
	v_fmac_f32_e32 v24, 0xbf955555, v26
	v_fmac_f32_e32 v39, 0xbf955555, v27
	v_fma_f32 v26, v38, s8, -v23
	v_fmac_f32_e32 v23, 0x3d64c772, v25
	v_fma_f32 v25, v19, s0, -v41
	;; [unrolled: 2-line block ×3, first 2 shown]
	v_fmac_f32_e32 v42, 0x3eae86e6, v21
	s_mov_b32 s0, 0xbeae86e6
	v_fma_f32 v17, v38, s1, -v40
	v_fma_f32 v27, v20, s0, -v43
	v_fma_f32 v38, v21, s0, -v44
	v_add_f32_e32 v30, v30, v24
	v_add_f32_e32 v40, v23, v39
	v_fmac_f32_e32 v41, 0x3ee1c552, v29
	v_fmac_f32_e32 v42, 0x3ee1c552, v18
	v_add_f32_e32 v23, v16, v24
	v_add_f32_e32 v43, v17, v39
	;; [unrolled: 1-line block ×4, first 2 shown]
	v_fmac_f32_e32 v25, 0x3ee1c552, v29
	v_fmac_f32_e32 v22, 0x3ee1c552, v18
	;; [unrolled: 1-line block ×4, first 2 shown]
	v_add_f32_e32 v16, v42, v30
	v_sub_f32_e32 v17, v40, v41
	v_add_f32_e32 v18, v38, v24
	v_sub_f32_e32 v19, v26, v27
	v_sub_f32_e32 v20, v23, v22
	v_add_f32_e32 v21, v25, v43
	v_add_f32_e32 v22, v22, v23
	v_sub_f32_e32 v23, v43, v25
	v_sub_f32_e32 v24, v24, v38
	v_add_f32_e32 v25, v27, v26
	v_sub_f32_e32 v30, v30, v42
	v_add_f32_e32 v31, v41, v40
	ds_write2_b64 v67, v[9:10], v[16:17] offset1:10
	ds_write2_b64 v67, v[18:19], v[20:21] offset0:20 offset1:30
	ds_write2_b64 v67, v[22:23], v[24:25] offset0:40 offset1:50
	ds_write_b64 v67, v[30:31] offset:480
	s_waitcnt lgkmcnt(0)
	; wave barrier
	s_waitcnt lgkmcnt(0)
	ds_read2_b64 v[38:41], v64 offset1:70
	ds_read2_b64 v[42:45], v64 offset0:140 offset1:210
	ds_read2_b64 v[46:49], v54 offset0:24 offset1:94
	v_cmp_gt_u16_e64 s[0:1], 10, v65
	s_and_saveexec_b64 s[8:9], s[0:1]
	s_cbranch_execz .LBB0_9
; %bb.8:
	ds_read2_b64 v[30:33], v64 offset0:60 offset1:130
	ds_read2_b64 v[34:37], v8 offset0:72 offset1:142
	;; [unrolled: 1-line block ×3, first 2 shown]
.LBB0_9:
	s_or_b64 exec, exec, s[8:9]
	v_mad_u64_u32 v[8:9], s[8:9], v65, 40, s[2:3]
	v_add_u32_e32 v10, 60, v65
	global_load_dwordx2 v[62:63], v[8:9], off offset:512
	global_load_dwordx4 v[20:23], v[8:9], off offset:496
	global_load_dwordx4 v[24:27], v[8:9], off offset:480
	v_add_u32_e32 v8, -10, v65
	v_cndmask_b32_e64 v8, v8, v10, s[0:1]
	v_mul_hi_i32_i24_e32 v9, 40, v8
	v_mul_i32_i24_e32 v8, 40, v8
	v_mov_b32_e32 v10, s3
	v_add_co_u32_e64 v28, s[2:3], s2, v8
	v_addc_co_u32_e64 v29, s[2:3], v10, v9, s[2:3]
	global_load_dwordx4 v[8:11], v[28:29], off offset:480
	global_load_dwordx4 v[16:19], v[28:29], off offset:496
	global_load_dwordx2 v[60:61], v[28:29], off offset:512
	s_waitcnt vmcnt(5) lgkmcnt(0)
	v_mul_f32_e32 v70, v49, v63
	s_waitcnt vmcnt(4)
	v_mul_f32_e32 v57, v45, v21
	s_waitcnt vmcnt(3)
	v_mul_f32_e32 v56, v42, v27
	v_mul_f32_e32 v58, v44, v21
	;; [unrolled: 1-line block ×7, first 2 shown]
	v_fmac_f32_e32 v56, v43, v26
	v_fma_f32 v43, v44, v20, -v57
	s_waitcnt vmcnt(1)
	v_mul_f32_e32 v78, v51, v19
	s_waitcnt vmcnt(0)
	v_mul_f32_e32 v80, v53, v61
	v_fmac_f32_e32 v58, v45, v20
	v_fma_f32 v45, v48, v62, -v70
	v_fmac_f32_e32 v71, v49, v62
	v_mul_f32_e32 v69, v46, v23
	v_mul_f32_e32 v72, v33, v9
	;; [unrolled: 1-line block ×7, first 2 shown]
	v_fma_f32 v42, v42, v26, -v55
	v_fma_f32 v44, v46, v22, -v68
	;; [unrolled: 1-line block ×3, first 2 shown]
	v_fmac_f32_e32 v29, v41, v24
	v_fma_f32 v48, v50, v18, -v78
	v_fma_f32 v50, v52, v60, -v80
	v_add_f32_e32 v41, v43, v45
	v_add_f32_e32 v52, v58, v71
	v_mul_f32_e32 v74, v35, v11
	v_mul_f32_e32 v76, v37, v17
	v_fmac_f32_e32 v69, v47, v22
	v_fma_f32 v49, v32, v8, -v72
	v_fmac_f32_e32 v73, v33, v8
	v_fmac_f32_e32 v75, v35, v10
	;; [unrolled: 1-line block ×4, first 2 shown]
	v_add_f32_e32 v32, v38, v42
	v_add_f32_e32 v33, v42, v44
	;; [unrolled: 1-line block ×3, first 2 shown]
	v_sub_f32_e32 v37, v42, v44
	v_add_f32_e32 v40, v28, v43
	v_sub_f32_e32 v42, v58, v71
	v_add_f32_e32 v51, v29, v58
	v_fmac_f32_e32 v28, -0.5, v41
	v_fmac_f32_e32 v29, -0.5, v52
	v_fmac_f32_e32 v81, v53, v60
	v_sub_f32_e32 v43, v43, v45
	v_fma_f32 v53, -0.5, v33, v38
	v_add_f32_e32 v55, v35, v69
	v_add_f32_e32 v38, v40, v45
	v_mov_b32_e32 v35, v28
	v_fmac_f32_e32 v28, 0xbf5db3d7, v42
	v_mov_b32_e32 v45, v29
	v_fma_f32 v47, v36, v16, -v76
	v_add_f32_e32 v36, v56, v69
	v_fmac_f32_e32 v29, 0x3f5db3d7, v43
	v_fmac_f32_e32 v45, 0xbf5db3d7, v43
	v_mul_f32_e32 v43, -0.5, v28
	v_fma_f32 v46, v34, v10, -v74
	v_sub_f32_e32 v34, v56, v69
	v_fma_f32 v56, -0.5, v36, v39
	v_mov_b32_e32 v40, v53
	v_fmac_f32_e32 v35, 0x3f5db3d7, v42
	v_mul_f32_e32 v42, 0x3f5db3d7, v45
	v_fmac_f32_e32 v43, 0x3f5db3d7, v29
	v_mul_f32_e32 v29, -0.5, v29
	v_fmac_f32_e32 v53, 0xbf5db3d7, v34
	v_mov_b32_e32 v41, v56
	v_fmac_f32_e32 v56, 0x3f5db3d7, v37
	v_fmac_f32_e32 v40, 0x3f5db3d7, v34
	v_fmac_f32_e32 v42, 0.5, v35
	v_fmac_f32_e32 v29, 0xbf5db3d7, v28
	v_add_f32_e32 v39, v51, v71
	v_fmac_f32_e32 v41, 0xbf5db3d7, v37
	v_add_f32_e32 v34, v40, v42
	v_add_f32_e32 v36, v53, v43
	v_mul_f32_e32 v51, 0xbf5db3d7, v35
	v_add_f32_e32 v37, v56, v29
	v_sub_f32_e32 v40, v40, v42
	v_sub_f32_e32 v42, v53, v43
	;; [unrolled: 1-line block ×3, first 2 shown]
	v_add_f32_e32 v29, v46, v48
	v_add_f32_e32 v44, v32, v44
	v_fmac_f32_e32 v51, 0.5, v45
	v_add_f32_e32 v28, v30, v46
	v_fmac_f32_e32 v30, -0.5, v29
	v_add_f32_e32 v32, v44, v38
	v_add_f32_e32 v35, v41, v51
	v_sub_f32_e32 v38, v44, v38
	v_sub_f32_e32 v41, v41, v51
	;; [unrolled: 1-line block ×3, first 2 shown]
	v_mov_b32_e32 v51, v30
	v_add_f32_e32 v44, v75, v79
	v_fmac_f32_e32 v51, 0x3f5db3d7, v29
	v_fmac_f32_e32 v30, 0xbf5db3d7, v29
	v_add_f32_e32 v29, v31, v75
	v_fmac_f32_e32 v31, -0.5, v44
	v_sub_f32_e32 v44, v46, v48
	v_mov_b32_e32 v52, v31
	v_fmac_f32_e32 v52, 0xbf5db3d7, v44
	v_fmac_f32_e32 v31, 0x3f5db3d7, v44
	v_add_f32_e32 v44, v49, v47
	v_add_f32_e32 v53, v44, v50
	v_add_f32_e32 v44, v47, v50
	v_fmac_f32_e32 v49, -0.5, v44
	v_add_f32_e32 v33, v55, v39
	v_sub_f32_e32 v39, v55, v39
	v_sub_f32_e32 v44, v77, v81
	v_mov_b32_e32 v55, v49
	v_fmac_f32_e32 v55, 0x3f5db3d7, v44
	v_fmac_f32_e32 v49, 0xbf5db3d7, v44
	v_add_f32_e32 v44, v73, v77
	v_add_f32_e32 v56, v44, v81
	;; [unrolled: 1-line block ×3, first 2 shown]
	v_fmac_f32_e32 v73, -0.5, v44
	v_sub_f32_e32 v44, v47, v50
	v_mov_b32_e32 v47, v73
	v_fmac_f32_e32 v47, 0xbf5db3d7, v44
	v_fmac_f32_e32 v73, 0x3f5db3d7, v44
	v_mul_f32_e32 v57, 0x3f5db3d7, v47
	v_fmac_f32_e32 v57, 0.5, v55
	v_mul_f32_e32 v58, -0.5, v49
	v_mul_f32_e32 v55, 0xbf5db3d7, v55
	v_mul_f32_e32 v68, -0.5, v73
	v_add_f32_e32 v28, v28, v48
	v_add_f32_e32 v29, v29, v79
	v_fmac_f32_e32 v58, 0x3f5db3d7, v73
	v_fmac_f32_e32 v55, 0.5, v47
	v_fmac_f32_e32 v68, 0xbf5db3d7, v49
	v_add_f32_e32 v44, v28, v53
	v_add_f32_e32 v46, v51, v57
	;; [unrolled: 1-line block ×6, first 2 shown]
	v_sub_f32_e32 v50, v28, v53
	v_sub_f32_e32 v28, v51, v57
	;; [unrolled: 1-line block ×6, first 2 shown]
	ds_write2_b64 v64, v[32:33], v[34:35] offset1:70
	ds_write2_b64 v64, v[36:37], v[38:39] offset0:140 offset1:210
	ds_write2_b64 v54, v[40:41], v[42:43] offset0:24 offset1:94
	s_and_saveexec_b64 s[2:3], s[0:1]
	s_cbranch_execz .LBB0_11
; %bb.10:
	v_add_u32_e32 v52, 0x400, v64
	ds_write2_b64 v52, v[48:49], v[50:51] offset0:72 offset1:142
	v_add_u32_e32 v52, 0x800, v64
	ds_write2_b64 v64, v[44:45], v[46:47] offset0:60 offset1:130
	ds_write2_b64 v52, v[28:29], v[30:31] offset0:84 offset1:154
.LBB0_11:
	s_or_b64 exec, exec, s[2:3]
	s_waitcnt lgkmcnt(0)
	; wave barrier
	s_waitcnt lgkmcnt(0)
	s_and_saveexec_b64 s[2:3], vcc
	s_cbranch_execz .LBB0_13
; %bb.12:
	ds_read_b64 v[52:53], v64
	global_load_dwordx2 v[54:55], v64, s[14:15] offset:3360
	s_add_u32 s8, s14, 0xd20
	s_addc_u32 s9, s15, 0
	s_waitcnt vmcnt(0) lgkmcnt(0)
	v_mul_f32_e32 v56, v53, v55
	v_mul_f32_e32 v57, v52, v55
	v_fma_f32 v56, v52, v54, -v56
	v_fmac_f32_e32 v57, v53, v54
	ds_write_b64 v64, v[56:57]
	global_load_dwordx2 v[56:57], v64, s[8:9] offset:336
	ds_read2_b64 v[52:55], v64 offset0:42 offset1:84
	s_waitcnt vmcnt(0) lgkmcnt(0)
	v_mul_f32_e32 v58, v53, v57
	v_mul_f32_e32 v69, v52, v57
	v_fma_f32 v68, v52, v56, -v58
	v_fmac_f32_e32 v69, v53, v56
	global_load_dwordx2 v[52:53], v64, s[8:9] offset:672
	s_waitcnt vmcnt(0)
	v_mul_f32_e32 v56, v55, v53
	v_mul_f32_e32 v57, v54, v53
	v_fma_f32 v56, v54, v52, -v56
	v_fmac_f32_e32 v57, v55, v52
	ds_write2_b64 v64, v[68:69], v[56:57] offset0:42 offset1:84
	global_load_dwordx2 v[56:57], v64, s[8:9] offset:1008
	ds_read2_b64 v[52:55], v64 offset0:126 offset1:168
	s_waitcnt vmcnt(0) lgkmcnt(0)
	v_mul_f32_e32 v58, v53, v57
	v_mul_f32_e32 v69, v52, v57
	v_fma_f32 v68, v52, v56, -v58
	v_fmac_f32_e32 v69, v53, v56
	global_load_dwordx2 v[52:53], v64, s[8:9] offset:1344
	v_add_u32_e32 v58, 0x400, v64
	s_waitcnt vmcnt(0)
	v_mul_f32_e32 v56, v55, v53
	v_mul_f32_e32 v57, v54, v53
	v_fma_f32 v56, v54, v52, -v56
	v_fmac_f32_e32 v57, v55, v52
	ds_write2_b64 v64, v[68:69], v[56:57] offset0:126 offset1:168
	ds_read_b64 v[52:53], v64 offset:1680
	global_load_dwordx2 v[54:55], v64, s[8:9] offset:1680
	s_waitcnt vmcnt(0) lgkmcnt(0)
	v_mul_f32_e32 v56, v53, v55
	v_mul_f32_e32 v57, v52, v55
	v_fma_f32 v56, v52, v54, -v56
	v_fmac_f32_e32 v57, v53, v54
	ds_write_b64 v64, v[56:57] offset:1680
	global_load_dwordx2 v[56:57], v64, s[8:9] offset:2016
	ds_read2_b64 v[52:55], v58 offset0:124 offset1:166
	s_waitcnt vmcnt(0) lgkmcnt(0)
	v_mul_f32_e32 v68, v53, v57
	v_mul_f32_e32 v69, v52, v57
	v_fma_f32 v68, v52, v56, -v68
	v_fmac_f32_e32 v69, v53, v56
	global_load_dwordx2 v[52:53], v64, s[8:9] offset:2352
	s_waitcnt vmcnt(0)
	v_mul_f32_e32 v56, v55, v53
	v_mul_f32_e32 v57, v54, v53
	v_fma_f32 v56, v54, v52, -v56
	v_fmac_f32_e32 v57, v55, v52
	ds_write2_b64 v58, v[68:69], v[56:57] offset0:124 offset1:166
	global_load_dwordx2 v[56:57], v64, s[8:9] offset:2688
	v_add_u32_e32 v58, 0x800, v64
	ds_read2_b64 v[52:55], v58 offset0:80 offset1:122
	s_waitcnt vmcnt(0) lgkmcnt(0)
	v_mul_f32_e32 v68, v53, v57
	v_mul_f32_e32 v69, v52, v57
	v_fma_f32 v68, v52, v56, -v68
	v_fmac_f32_e32 v69, v53, v56
	global_load_dwordx2 v[52:53], v64, s[8:9] offset:3024
	s_waitcnt vmcnt(0)
	v_mul_f32_e32 v56, v55, v53
	v_mul_f32_e32 v57, v54, v53
	v_fma_f32 v56, v54, v52, -v56
	v_fmac_f32_e32 v57, v55, v52
	ds_write2_b64 v58, v[68:69], v[56:57] offset0:80 offset1:122
.LBB0_13:
	s_or_b64 exec, exec, s[2:3]
	s_waitcnt lgkmcnt(0)
	; wave barrier
	s_waitcnt lgkmcnt(0)
	s_and_saveexec_b64 s[2:3], vcc
	s_cbranch_execz .LBB0_15
; %bb.14:
	ds_read2_b64 v[32:35], v64 offset1:42
	ds_read2_b64 v[36:39], v64 offset0:84 offset1:126
	ds_read2_b64 v[40:43], v64 offset0:168 offset1:210
	v_add_u32_e32 v44, 0x400, v64
	v_add_u32_e32 v48, 0x800, v64
	ds_read2_b64 v[44:47], v44 offset0:124 offset1:166
	ds_read2_b64 v[48:51], v48 offset0:80 offset1:122
.LBB0_15:
	s_or_b64 exec, exec, s[2:3]
	s_waitcnt lgkmcnt(2)
	v_sub_f32_e32 v53, v36, v40
	s_waitcnt lgkmcnt(0)
	v_sub_f32_e32 v54, v48, v44
	v_add_f32_e32 v76, v54, v53
	v_add_f32_e32 v53, v48, v36
	v_fma_f32 v70, -0.5, v53, v32
	v_add_f32_e32 v52, v44, v40
	v_sub_f32_e32 v75, v41, v45
	v_mov_b32_e32 v69, v70
	v_fma_f32 v71, -0.5, v52, v32
	v_sub_f32_e32 v52, v37, v49
	v_fmac_f32_e32 v69, 0x3f737871, v75
	v_sub_f32_e32 v53, v40, v36
	v_sub_f32_e32 v54, v44, v48
	v_fmac_f32_e32 v70, 0xbf737871, v75
	v_fmac_f32_e32 v69, 0xbf167918, v52
	v_add_f32_e32 v53, v54, v53
	v_fmac_f32_e32 v70, 0x3f167918, v52
	v_fmac_f32_e32 v69, 0x3e9e377a, v53
	;; [unrolled: 1-line block ×3, first 2 shown]
	v_add_f32_e32 v53, v45, v41
	v_fma_f32 v77, -0.5, v53, v33
	v_sub_f32_e32 v53, v37, v41
	v_sub_f32_e32 v54, v49, v45
	v_add_f32_e32 v80, v54, v53
	v_add_f32_e32 v53, v49, v37
	v_fma_f32 v74, -0.5, v53, v33
	v_sub_f32_e32 v79, v40, v44
	v_mov_b32_e32 v73, v74
	v_sub_f32_e32 v78, v36, v48
	v_fmac_f32_e32 v73, 0xbf737871, v79
	v_sub_f32_e32 v53, v41, v37
	v_sub_f32_e32 v54, v45, v49
	v_fmac_f32_e32 v74, 0x3f737871, v79
	v_fmac_f32_e32 v73, 0x3f167918, v78
	v_add_f32_e32 v53, v54, v53
	v_fmac_f32_e32 v74, 0xbf167918, v78
	v_fmac_f32_e32 v73, 0x3e9e377a, v53
	;; [unrolled: 1-line block ×3, first 2 shown]
	v_add_f32_e32 v53, v42, v46
	v_fma_f32 v81, -0.5, v53, v34
	v_sub_f32_e32 v53, v38, v42
	v_sub_f32_e32 v54, v50, v46
	v_add_f32_e32 v84, v53, v54
	v_add_f32_e32 v54, v38, v50
	v_fma_f32 v54, -0.5, v54, v34
	v_sub_f32_e32 v83, v43, v47
	v_mov_b32_e32 v55, v54
	v_sub_f32_e32 v82, v39, v51
	v_fmac_f32_e32 v55, 0x3f737871, v83
	v_sub_f32_e32 v56, v42, v38
	v_sub_f32_e32 v57, v46, v50
	v_fmac_f32_e32 v54, 0xbf737871, v83
	v_fmac_f32_e32 v55, 0xbf167918, v82
	v_add_f32_e32 v56, v56, v57
	v_fmac_f32_e32 v54, 0x3f167918, v82
	v_fmac_f32_e32 v55, 0x3e9e377a, v56
	;; [unrolled: 1-line block ×3, first 2 shown]
	v_add_f32_e32 v56, v43, v47
	v_fma_f32 v88, -0.5, v56, v35
	v_sub_f32_e32 v56, v39, v43
	v_sub_f32_e32 v57, v51, v47
	v_add_f32_e32 v94, v56, v57
	v_add_f32_e32 v57, v39, v51
	v_fma_f32 v57, -0.5, v57, v35
	v_sub_f32_e32 v91, v38, v50
	v_sub_f32_e32 v92, v42, v46
	v_mov_b32_e32 v56, v88
	v_mov_b32_e32 v58, v57
	;; [unrolled: 1-line block ×3, first 2 shown]
	v_fmac_f32_e32 v56, 0xbf737871, v91
	v_fmac_f32_e32 v58, 0xbf737871, v92
	v_sub_f32_e32 v85, v43, v39
	v_sub_f32_e32 v86, v47, v51
	v_fmac_f32_e32 v57, 0x3f737871, v92
	v_mov_b32_e32 v68, v71
	v_mov_b32_e32 v72, v77
	v_fmac_f32_e32 v53, 0x3f737871, v82
	v_fmac_f32_e32 v56, 0xbf167918, v92
	;; [unrolled: 1-line block ×3, first 2 shown]
	v_add_f32_e32 v85, v85, v86
	v_fmac_f32_e32 v57, 0xbf167918, v91
	v_fmac_f32_e32 v68, 0x3f737871, v52
	v_fmac_f32_e32 v72, 0xbf737871, v78
	v_fmac_f32_e32 v53, 0x3f167918, v83
	v_fmac_f32_e32 v56, 0x3e9e377a, v94
	v_fmac_f32_e32 v58, 0x3e9e377a, v85
	v_fmac_f32_e32 v57, 0x3e9e377a, v85
	v_fmac_f32_e32 v68, 0x3f167918, v75
	v_fmac_f32_e32 v72, 0xbf167918, v79
	v_fmac_f32_e32 v53, 0x3e9e377a, v84
	v_mul_f32_e32 v85, 0xbf737871, v58
	v_mul_f32_e32 v86, 0xbf737871, v57
	;; [unrolled: 1-line block ×6, first 2 shown]
	v_fmac_f32_e32 v68, 0x3e9e377a, v76
	v_fmac_f32_e32 v72, 0x3e9e377a, v80
	;; [unrolled: 1-line block ×8, first 2 shown]
	v_sub_f32_e32 v53, v69, v85
	v_sub_f32_e32 v55, v70, v86
	;; [unrolled: 1-line block ×6, first 2 shown]
	s_waitcnt lgkmcnt(0)
	; wave barrier
	s_and_saveexec_b64 s[2:3], vcc
	s_cbranch_execz .LBB0_17
; %bb.16:
	v_mul_f32_e32 v95, 0x3f737871, v52
	v_mul_f32_e32 v52, 0x3f737871, v78
	v_add_f32_e32 v33, v37, v33
	v_mul_f32_e32 v78, 0x3f167918, v79
	v_add_f32_e32 v52, v52, v77
	v_add_f32_e32 v33, v41, v33
	v_mul_f32_e32 v79, 0x3e9e377a, v80
	v_mul_f32_e32 v80, 0x3f737871, v82
	v_add_f32_e32 v52, v78, v52
	v_add_f32_e32 v33, v45, v33
	v_mul_f32_e32 v82, 0x3f167918, v83
	v_add_f32_e32 v77, v79, v52
	v_sub_f32_e32 v52, v81, v80
	v_add_f32_e32 v41, v49, v33
	v_add_f32_e32 v33, v39, v35
	v_add_f32_e32 v32, v36, v32
	v_mul_f32_e32 v83, 0x3e9e377a, v84
	v_mul_f32_e32 v84, 0x3f737871, v91
	v_sub_f32_e32 v52, v52, v82
	v_add_f32_e32 v33, v43, v33
	v_add_f32_e32 v32, v40, v32
	v_mul_f32_e32 v91, 0x3f167918, v92
	v_add_f32_e32 v78, v83, v52
	v_add_f32_e32 v52, v84, v88
	;; [unrolled: 1-line block ×4, first 2 shown]
	v_mul_f32_e32 v75, 0x3f167918, v75
	v_mul_f32_e32 v92, 0x3e9e377a, v94
	v_add_f32_e32 v52, v91, v52
	v_add_f32_e32 v45, v51, v33
	v_sub_f32_e32 v33, v71, v95
	v_add_f32_e32 v40, v48, v32
	v_add_f32_e32 v32, v38, v34
	v_mul_f32_e32 v76, 0x3e9e377a, v76
	v_add_f32_e32 v79, v92, v52
	v_sub_f32_e32 v33, v33, v75
	v_add_f32_e32 v32, v42, v32
	s_mov_b32 s8, 0x3f4f1bbd
	v_mul_f32_e32 v80, 0x3f4f1bbd, v79
	v_add_f32_e32 v47, v76, v33
	v_mul_f32_e32 v33, 0x3f167918, v79
	v_add_f32_e32 v32, v46, v32
	v_fmac_f32_e32 v80, 0x3f167918, v78
	v_fma_f32 v49, v78, s8, -v33
	v_add_f32_e32 v44, v50, v32
	v_sub_f32_e32 v35, v41, v45
	v_sub_f32_e32 v34, v40, v44
	v_add_f32_e32 v43, v77, v80
	v_add_f32_e32 v41, v45, v41
	;; [unrolled: 1-line block ×4, first 2 shown]
	v_lshlrev_b32_e32 v44, 3, v66
	v_sub_f32_e32 v52, v77, v80
	v_sub_f32_e32 v51, v47, v49
	v_add_f32_e32 v33, v72, v93
	v_add_f32_e32 v39, v74, v90
	;; [unrolled: 1-line block ×6, first 2 shown]
	ds_write_b128 v44, v[40:43]
	ds_write_b128 v44, v[36:39] offset:16
	ds_write_b128 v44, v[32:35] offset:32
	;; [unrolled: 1-line block ×4, first 2 shown]
.LBB0_17:
	s_or_b64 exec, exec, s[2:3]
	s_waitcnt lgkmcnt(0)
	; wave barrier
	s_waitcnt lgkmcnt(0)
	ds_read2_b64 v[33:36], v64 offset1:60
	ds_read2_b64 v[37:40], v64 offset0:120 offset1:180
	v_add_u32_e32 v32, 0x400, v64
	ds_read2_b64 v[41:44], v32 offset0:112 offset1:172
	ds_read_b64 v[45:46], v64 offset:2880
	s_mov_b32 s3, 0x3f3bfb3b
	s_waitcnt lgkmcnt(3)
	v_mul_f32_e32 v47, v13, v36
	v_mul_f32_e32 v13, v13, v35
	v_fmac_f32_e32 v47, v12, v35
	v_fma_f32 v12, v12, v36, -v13
	s_waitcnt lgkmcnt(2)
	v_mul_f32_e32 v13, v15, v38
	v_mul_f32_e32 v15, v15, v37
	v_fmac_f32_e32 v13, v14, v37
	v_fma_f32 v14, v14, v38, -v15
	v_mul_f32_e32 v15, v5, v40
	v_mul_f32_e32 v5, v5, v39
	v_fmac_f32_e32 v15, v4, v39
	v_fma_f32 v4, v4, v40, -v5
	s_waitcnt lgkmcnt(1)
	v_mul_f32_e32 v5, v7, v42
	v_mul_f32_e32 v7, v7, v41
	v_fmac_f32_e32 v5, v6, v41
	v_fma_f32 v6, v6, v42, -v7
	;; [unrolled: 9-line block ×3, first 2 shown]
	v_add_f32_e32 v3, v47, v1
	v_add_f32_e32 v35, v12, v2
	v_sub_f32_e32 v2, v12, v2
	v_add_f32_e32 v12, v13, v7
	v_add_f32_e32 v36, v14, v0
	v_sub_f32_e32 v7, v13, v7
	v_sub_f32_e32 v0, v14, v0
	v_add_f32_e32 v13, v15, v5
	v_add_f32_e32 v14, v4, v6
	v_sub_f32_e32 v4, v6, v4
	v_add_f32_e32 v6, v12, v3
	v_sub_f32_e32 v5, v5, v15
	v_add_f32_e32 v15, v36, v35
	v_add_f32_e32 v6, v13, v6
	v_sub_f32_e32 v1, v47, v1
	v_sub_f32_e32 v37, v12, v3
	;; [unrolled: 1-line block ×4, first 2 shown]
	v_add_f32_e32 v39, v5, v7
	v_add_f32_e32 v40, v4, v0
	v_sub_f32_e32 v42, v4, v0
	v_sub_f32_e32 v43, v0, v2
	v_add_f32_e32 v13, v14, v15
	v_add_f32_e32 v0, v33, v6
	v_sub_f32_e32 v38, v36, v35
	v_sub_f32_e32 v35, v35, v14
	v_sub_f32_e32 v36, v14, v36
	v_sub_f32_e32 v41, v5, v7
	v_sub_f32_e32 v5, v1, v5
	v_sub_f32_e32 v7, v7, v1
	v_add_f32_e32 v14, v39, v1
	v_add_f32_e32 v1, v34, v13
	v_mul_f32_e32 v39, 0x3f08b237, v42
	v_mov_b32_e32 v42, v0
	v_mul_f32_e32 v33, 0x3d64c772, v12
	v_mul_f32_e32 v34, 0x3d64c772, v36
	v_fmac_f32_e32 v42, 0xbf955555, v6
	v_mov_b32_e32 v6, v1
	v_mul_f32_e32 v3, 0x3f4a47b2, v3
	v_mul_f32_e32 v15, 0x3f4a47b2, v35
	;; [unrolled: 1-line block ×3, first 2 shown]
	s_mov_b32 s2, 0xbf5ff5aa
	v_fmac_f32_e32 v6, 0xbf955555, v13
	v_fma_f32 v13, v37, s3, -v33
	v_fma_f32 v33, v38, s3, -v34
	s_mov_b32 s3, 0xbf3bfb3b
	v_sub_f32_e32 v4, v2, v4
	v_add_f32_e32 v2, v40, v2
	v_mul_f32_e32 v40, 0xbf5ff5aa, v7
	v_mul_f32_e32 v41, 0xbf5ff5aa, v43
	v_fma_f32 v34, v37, s3, -v3
	v_fmac_f32_e32 v3, 0x3d64c772, v12
	v_fma_f32 v12, v38, s3, -v15
	v_fmac_f32_e32 v15, 0x3d64c772, v36
	v_fma_f32 v36, v7, s2, -v35
	v_fma_f32 v37, v43, s2, -v39
	s_mov_b32 s2, 0x3eae86e6
	v_fmac_f32_e32 v35, 0xbeae86e6, v5
	v_fmac_f32_e32 v39, 0xbeae86e6, v4
	v_fma_f32 v38, v5, s2, -v40
	v_fma_f32 v40, v4, s2, -v41
	v_add_f32_e32 v41, v3, v42
	v_add_f32_e32 v43, v15, v6
	;; [unrolled: 1-line block ×6, first 2 shown]
	v_fmac_f32_e32 v35, 0xbee1c552, v14
	v_fmac_f32_e32 v39, 0xbee1c552, v2
	;; [unrolled: 1-line block ×6, first 2 shown]
	v_add_f32_e32 v2, v39, v41
	v_sub_f32_e32 v3, v43, v35
	v_add_f32_e32 v4, v40, v33
	v_sub_f32_e32 v5, v34, v38
	v_sub_f32_e32 v6, v13, v37
	v_add_f32_e32 v7, v36, v15
	v_add_f32_e32 v12, v37, v13
	v_sub_f32_e32 v13, v15, v36
	v_sub_f32_e32 v14, v33, v40
	v_add_f32_e32 v15, v38, v34
	v_add_u32_e32 v33, 0x800, v64
	v_sub_f32_e32 v51, v41, v39
	v_add_f32_e32 v52, v35, v43
	s_waitcnt lgkmcnt(0)
	; wave barrier
	ds_write2_b64 v67, v[0:1], v[2:3] offset1:10
	ds_write2_b64 v67, v[4:5], v[6:7] offset0:20 offset1:30
	ds_write2_b64 v67, v[12:13], v[14:15] offset0:40 offset1:50
	ds_write_b64 v67, v[51:52] offset:480
	s_waitcnt lgkmcnt(0)
	; wave barrier
	s_waitcnt lgkmcnt(0)
	ds_read2_b64 v[0:3], v64 offset1:70
	ds_read2_b64 v[12:15], v64 offset0:140 offset1:210
	ds_read2_b64 v[4:7], v33 offset0:24 offset1:94
	s_and_saveexec_b64 s[2:3], s[0:1]
	s_cbranch_execz .LBB0_19
; %bb.18:
	ds_read2_b64 v[51:54], v64 offset0:60 offset1:130
	ds_read2_b64 v[55:58], v32 offset0:72 offset1:142
	;; [unrolled: 1-line block ×3, first 2 shown]
.LBB0_19:
	s_or_b64 exec, exec, s[2:3]
	s_waitcnt lgkmcnt(2)
	v_mul_f32_e32 v32, v25, v3
	v_fmac_f32_e32 v32, v24, v2
	v_mul_f32_e32 v2, v25, v2
	v_fma_f32 v24, v24, v3, -v2
	s_waitcnt lgkmcnt(1)
	v_mul_f32_e32 v2, v27, v13
	v_fmac_f32_e32 v2, v26, v12
	v_mul_f32_e32 v3, v27, v12
	v_mul_f32_e32 v12, v21, v15
	v_fma_f32 v3, v26, v13, -v3
	v_fmac_f32_e32 v12, v20, v14
	v_mul_f32_e32 v13, v21, v14
	s_waitcnt lgkmcnt(0)
	v_mul_f32_e32 v14, v23, v5
	v_fmac_f32_e32 v14, v22, v4
	v_mul_f32_e32 v4, v23, v4
	v_fma_f32 v13, v20, v15, -v13
	v_fma_f32 v4, v22, v5, -v4
	v_mul_f32_e32 v5, v63, v7
	v_add_f32_e32 v15, v2, v14
	v_fmac_f32_e32 v5, v62, v6
	v_mul_f32_e32 v6, v63, v6
	v_fma_f32 v15, -0.5, v15, v0
	v_fma_f32 v6, v62, v7, -v6
	v_add_f32_e32 v7, v0, v2
	v_sub_f32_e32 v0, v3, v4
	v_mov_b32_e32 v20, v15
	v_fmac_f32_e32 v20, 0xbf5db3d7, v0
	v_fmac_f32_e32 v15, 0x3f5db3d7, v0
	v_add_f32_e32 v0, v1, v3
	v_add_f32_e32 v21, v0, v4
	v_add_f32_e32 v0, v3, v4
	v_fma_f32 v22, -0.5, v0, v1
	v_sub_f32_e32 v0, v2, v14
	v_mov_b32_e32 v23, v22
	v_fmac_f32_e32 v23, 0x3f5db3d7, v0
	v_fmac_f32_e32 v22, 0xbf5db3d7, v0
	v_add_f32_e32 v0, v32, v12
	v_add_f32_e32 v7, v7, v14
	;; [unrolled: 1-line block ×4, first 2 shown]
	v_fmac_f32_e32 v32, -0.5, v0
	v_sub_f32_e32 v0, v13, v6
	v_mov_b32_e32 v3, v32
	v_fmac_f32_e32 v3, 0xbf5db3d7, v0
	v_fmac_f32_e32 v32, 0x3f5db3d7, v0
	v_add_f32_e32 v0, v24, v13
	v_add_f32_e32 v25, v0, v6
	;; [unrolled: 1-line block ×3, first 2 shown]
	v_fmac_f32_e32 v24, -0.5, v0
	v_sub_f32_e32 v0, v12, v5
	v_mov_b32_e32 v5, v24
	v_fmac_f32_e32 v5, 0x3f5db3d7, v0
	v_fmac_f32_e32 v24, 0xbf5db3d7, v0
	v_mul_f32_e32 v12, 0xbf5db3d7, v5
	v_mul_f32_e32 v26, 0.5, v5
	v_fmac_f32_e32 v12, 0.5, v3
	v_mul_f32_e32 v13, 0xbf5db3d7, v24
	v_fmac_f32_e32 v26, 0x3f5db3d7, v3
	v_mul_f32_e32 v24, -0.5, v24
	v_add_f32_e32 v0, v7, v14
	v_add_f32_e32 v2, v20, v12
	v_fmac_f32_e32 v13, -0.5, v32
	v_add_f32_e32 v1, v21, v25
	v_add_f32_e32 v3, v23, v26
	v_fmac_f32_e32 v24, 0x3f5db3d7, v32
	v_add_f32_e32 v4, v15, v13
	v_add_f32_e32 v5, v22, v24
	v_sub_f32_e32 v6, v7, v14
	v_sub_f32_e32 v12, v20, v12
	;; [unrolled: 1-line block ×6, first 2 shown]
	ds_write2_b64 v64, v[0:1], v[2:3] offset1:70
	ds_write2_b64 v64, v[4:5], v[6:7] offset0:140 offset1:210
	ds_write2_b64 v33, v[12:13], v[14:15] offset0:24 offset1:94
	s_and_saveexec_b64 s[2:3], s[0:1]
	s_cbranch_execz .LBB0_21
; %bb.20:
	v_mul_f32_e32 v0, v11, v55
	v_mul_f32_e32 v1, v19, v28
	v_fma_f32 v0, v10, v56, -v0
	v_fma_f32 v2, v18, v29, -v1
	v_mul_f32_e32 v12, v17, v58
	v_mul_f32_e32 v13, v61, v31
	v_add_f32_e32 v1, v0, v2
	v_mul_f32_e32 v4, v11, v56
	v_mul_f32_e32 v11, v9, v54
	v_fmac_f32_e32 v12, v16, v57
	v_fmac_f32_e32 v13, v60, v30
	v_fma_f32 v6, -0.5, v1, v52
	v_fmac_f32_e32 v11, v8, v53
	v_add_f32_e32 v1, v12, v13
	v_fma_f32 v14, -0.5, v1, v11
	v_mul_f32_e32 v1, v17, v57
	v_fma_f32 v5, v16, v58, -v1
	v_mul_f32_e32 v1, v61, v30
	v_fma_f32 v15, v60, v31, -v1
	;; [unrolled: 2-line block ×3, first 2 shown]
	v_add_f32_e32 v1, v5, v15
	v_mul_f32_e32 v7, v19, v29
	v_fma_f32 v9, -0.5, v1, v8
	v_fmac_f32_e32 v7, v18, v28
	v_sub_f32_e32 v18, v12, v13
	v_mov_b32_e32 v19, v9
	v_sub_f32_e32 v16, v5, v15
	v_mov_b32_e32 v17, v14
	v_fmac_f32_e32 v19, 0xbf5db3d7, v18
	v_fmac_f32_e32 v4, v10, v55
	;; [unrolled: 1-line block ×3, first 2 shown]
	v_mul_f32_e32 v20, -0.5, v19
	v_fmac_f32_e32 v9, 0x3f5db3d7, v18
	v_add_f32_e32 v5, v8, v5
	v_mul_f32_e32 v19, 0xbf5db3d7, v19
	v_sub_f32_e32 v3, v4, v7
	v_fmac_f32_e32 v20, 0x3f5db3d7, v17
	v_fmac_f32_e32 v14, 0xbf5db3d7, v16
	v_mul_f32_e32 v16, 0.5, v9
	v_add_f32_e32 v18, v52, v0
	v_add_f32_e32 v8, v5, v15
	v_add_f32_e32 v15, v4, v7
	v_fmac_f32_e32 v19, -0.5, v17
	v_mul_f32_e32 v17, 0xbf5db3d7, v9
	v_add_f32_e32 v4, v51, v4
	v_mov_b32_e32 v10, v6
	v_fmac_f32_e32 v16, 0x3f5db3d7, v14
	v_add_f32_e32 v18, v18, v2
	v_fma_f32 v15, -0.5, v15, v51
	v_sub_f32_e32 v2, v0, v2
	v_fmac_f32_e32 v17, 0.5, v14
	v_add_f32_e32 v14, v4, v7
	v_add_f32_e32 v4, v11, v12
	v_fmac_f32_e32 v10, 0xbf5db3d7, v3
	v_fmac_f32_e32 v6, 0x3f5db3d7, v3
	v_mov_b32_e32 v21, v15
	v_fmac_f32_e32 v15, 0xbf5db3d7, v2
	v_add_f32_e32 v12, v4, v13
	v_sub_f32_e32 v1, v10, v20
	v_sub_f32_e32 v5, v18, v8
	v_fmac_f32_e32 v21, 0x3f5db3d7, v2
	v_add_f32_e32 v7, v10, v20
	v_add_f32_e32 v9, v6, v16
	;; [unrolled: 1-line block ×5, first 2 shown]
	v_sub_f32_e32 v3, v6, v16
	v_sub_f32_e32 v4, v14, v12
	v_add_f32_e32 v6, v21, v19
	ds_write2_b64 v64, v[10:11], v[8:9] offset0:60 offset1:130
	v_add_u32_e32 v8, 0x400, v64
	v_sub_f32_e32 v0, v21, v19
	v_sub_f32_e32 v2, v15, v17
	ds_write2_b64 v8, v[6:7], v[4:5] offset0:72 offset1:142
	v_add_u32_e32 v4, 0x800, v64
	ds_write2_b64 v4, v[2:3], v[0:1] offset0:84 offset1:154
.LBB0_21:
	s_or_b64 exec, exec, s[2:3]
	s_waitcnt lgkmcnt(0)
	; wave barrier
	s_waitcnt lgkmcnt(0)
	s_and_b64 exec, exec, vcc
	s_cbranch_execz .LBB0_23
; %bb.22:
	global_load_dwordx2 v[12:13], v64, s[14:15]
	global_load_dwordx2 v[14:15], v64, s[14:15] offset:336
	global_load_dwordx2 v[16:17], v64, s[14:15] offset:672
	;; [unrolled: 1-line block ×4, first 2 shown]
	ds_read2_b64 v[0:3], v64 offset1:210
	ds_read2_b64 v[4:7], v64 offset0:42 offset1:84
	ds_read2_b64 v[8:11], v64 offset0:126 offset1:168
	global_load_dwordx2 v[26:27], v64, s[14:15] offset:1680
	global_load_dwordx2 v[28:29], v64, s[14:15] offset:2016
	;; [unrolled: 1-line block ×5, first 2 shown]
	v_mad_u64_u32 v[22:23], s[0:1], s6, v59, 0
	v_mad_u64_u32 v[24:25], s[2:3], s4, v65, 0
	s_mul_i32 s3, s5, 0x150
	s_mul_hi_u32 s6, s4, 0x150
	s_add_i32 s3, s6, s3
	v_mad_u64_u32 v[36:37], s[6:7], s7, v59, v[23:24]
	s_mul_i32 s2, s4, 0x150
	v_mov_b32_e32 v39, s13
	v_mov_b32_e32 v23, v36
	v_lshlrev_b64 v[22:23], 3, v[22:23]
	v_mov_b32_e32 v40, s3
	v_add_co_u32_e32 v22, vcc, s12, v22
	v_addc_co_u32_e32 v23, vcc, v39, v23, vcc
	s_mov_b32 s0, 0x13813814
	s_mov_b32 s1, 0x3f638138
	v_mov_b32_e32 v41, s3
	s_waitcnt vmcnt(8) lgkmcnt(1)
	v_mul_f32_e32 v39, v5, v15
	v_mul_f32_e32 v15, v4, v15
	s_waitcnt vmcnt(6) lgkmcnt(0)
	v_mul_f32_e32 v42, v9, v19
	s_waitcnt vmcnt(4)
	v_mad_u64_u32 v[37:38], s[4:5], s5, v65, v[25:26]
	v_mov_b32_e32 v38, s3
	v_mul_f32_e32 v19, v8, v19
	v_mov_b32_e32 v25, v37
	v_lshlrev_b64 v[24:25], 3, v[24:25]
	v_fmac_f32_e32 v39, v4, v14
	v_add_co_u32_e32 v22, vcc, v22, v24
	v_addc_co_u32_e32 v23, vcc, v23, v25, vcc
	v_add_co_u32_e32 v24, vcc, s2, v22
	v_addc_co_u32_e32 v25, vcc, v23, v40, vcc
	;; [unrolled: 2-line block ×3, first 2 shown]
	v_mul_f32_e32 v38, v1, v13
	v_mul_f32_e32 v13, v0, v13
	v_fmac_f32_e32 v38, v0, v12
	v_fma_f32 v12, v12, v1, -v13
	v_mul_f32_e32 v40, v7, v17
	v_mul_f32_e32 v17, v6, v17
	v_fma_f32 v13, v14, v5, -v15
	v_cvt_f64_f32_e32 v[0:1], v38
	v_cvt_f64_f32_e32 v[4:5], v12
	v_fmac_f32_e32 v40, v6, v16
	v_fma_f32 v14, v16, v7, -v17
	v_fmac_f32_e32 v42, v8, v18
	v_fma_f32 v18, v18, v9, -v19
	v_cvt_f64_f32_e32 v[6:7], v39
	v_cvt_f64_f32_e32 v[8:9], v13
	;; [unrolled: 1-line block ×4, first 2 shown]
	v_mul_f64 v[0:1], v[0:1], s[0:1]
	v_mul_f64 v[4:5], v[4:5], s[0:1]
	;; [unrolled: 1-line block ×6, first 2 shown]
	v_cvt_f64_f32_e32 v[16:17], v42
	v_cvt_f64_f32_e32 v[18:19], v18
	v_mul_f32_e32 v43, v11, v21
	v_fmac_f32_e32 v43, v10, v20
	v_cvt_f64_f32_e32 v[38:39], v43
	v_mul_f64 v[16:17], v[16:17], s[0:1]
	v_mul_f64 v[18:19], v[18:19], s[0:1]
	v_cvt_f32_f64_e32 v0, v[0:1]
	v_cvt_f32_f64_e32 v1, v[4:5]
	;; [unrolled: 1-line block ×6, first 2 shown]
	global_store_dwordx2 v[22:23], v[0:1], off
	global_store_dwordx2 v[24:25], v[4:5], off
	;; [unrolled: 1-line block ×3, first 2 shown]
	v_mul_f64 v[0:1], v[38:39], s[0:1]
	v_mul_f32_e32 v4, v10, v21
	v_fma_f32 v4, v20, v11, -v4
	v_cvt_f64_f32_e32 v[4:5], v4
	v_cvt_f32_f64_e32 v8, v[16:17]
	v_cvt_f32_f64_e32 v9, v[18:19]
	v_add_co_u32_e32 v6, vcc, s2, v36
	v_mul_f64 v[4:5], v[4:5], s[0:1]
	v_addc_co_u32_e32 v7, vcc, v37, v41, vcc
	global_store_dwordx2 v[6:7], v[8:9], off
	v_cvt_f32_f64_e32 v8, v[0:1]
	v_mul_f32_e32 v0, v3, v27
	v_fmac_f32_e32 v0, v2, v26
	v_mul_f32_e32 v2, v2, v27
	v_cvt_f64_f32_e32 v[0:1], v0
	v_fma_f32 v2, v26, v3, -v2
	v_cvt_f64_f32_e32 v[2:3], v2
	v_cvt_f32_f64_e32 v9, v[4:5]
	v_mul_f64 v[4:5], v[0:1], s[0:1]
	v_add_u32_e32 v0, 0x400, v64
	v_mul_f64 v[10:11], v[2:3], s[0:1]
	ds_read2_b64 v[0:3], v0 offset0:124 offset1:166
	v_mov_b32_e32 v12, s3
	v_add_co_u32_e32 v6, vcc, s2, v6
	v_addc_co_u32_e32 v7, vcc, v7, v12, vcc
	global_store_dwordx2 v[6:7], v[8:9], off
	s_waitcnt vmcnt(8) lgkmcnt(0)
	v_mul_f32_e32 v8, v1, v29
	v_fmac_f32_e32 v8, v0, v28
	v_cvt_f64_f32_e32 v[8:9], v8
	v_mul_f32_e32 v0, v0, v29
	v_fma_f32 v0, v28, v1, -v0
	v_cvt_f64_f32_e32 v[0:1], v0
	v_mul_f64 v[8:9], v[8:9], s[0:1]
	v_cvt_f32_f64_e32 v4, v[4:5]
	v_cvt_f32_f64_e32 v5, v[10:11]
	v_mov_b32_e32 v10, s3
	v_add_co_u32_e32 v6, vcc, s2, v6
	v_addc_co_u32_e32 v7, vcc, v7, v10, vcc
	v_mul_f64 v[0:1], v[0:1], s[0:1]
	global_store_dwordx2 v[6:7], v[4:5], off
	s_waitcnt vmcnt(8)
	v_mul_f32_e32 v5, v3, v31
	v_fmac_f32_e32 v5, v2, v30
	v_cvt_f32_f64_e32 v4, v[8:9]
	v_cvt_f64_f32_e32 v[8:9], v5
	v_mul_f32_e32 v2, v2, v31
	v_fma_f32 v2, v30, v3, -v2
	v_cvt_f64_f32_e32 v[2:3], v2
	v_mul_f64 v[8:9], v[8:9], s[0:1]
	v_cvt_f32_f64_e32 v5, v[0:1]
	v_mov_b32_e32 v0, s3
	v_add_co_u32_e32 v6, vcc, s2, v6
	v_addc_co_u32_e32 v7, vcc, v7, v0, vcc
	v_add_u32_e32 v0, 0x800, v64
	v_mul_f64 v[10:11], v[2:3], s[0:1]
	ds_read2_b64 v[0:3], v0 offset0:80 offset1:122
	global_store_dwordx2 v[6:7], v[4:5], off
	v_cvt_f32_f64_e32 v4, v[8:9]
	v_add_co_u32_e32 v6, vcc, s2, v6
	s_waitcnt vmcnt(8) lgkmcnt(0)
	v_mul_f32_e32 v8, v1, v33
	v_fmac_f32_e32 v8, v0, v32
	v_mul_f32_e32 v0, v0, v33
	v_fma_f32 v0, v32, v1, -v0
	v_cvt_f32_f64_e32 v5, v[10:11]
	v_cvt_f64_f32_e32 v[8:9], v8
	v_cvt_f64_f32_e32 v[0:1], v0
	v_mov_b32_e32 v10, s3
	v_addc_co_u32_e32 v7, vcc, v7, v10, vcc
	global_store_dwordx2 v[6:7], v[4:5], off
	v_mul_f64 v[4:5], v[8:9], s[0:1]
	v_mul_f64 v[0:1], v[0:1], s[0:1]
	s_waitcnt vmcnt(8)
	v_mul_f32_e32 v8, v3, v35
	v_fmac_f32_e32 v8, v2, v34
	v_mul_f32_e32 v2, v2, v35
	v_fma_f32 v2, v34, v3, -v2
	v_cvt_f64_f32_e32 v[8:9], v8
	v_cvt_f64_f32_e32 v[2:3], v2
	v_cvt_f32_f64_e32 v4, v[4:5]
	v_cvt_f32_f64_e32 v5, v[0:1]
	v_mul_f64 v[0:1], v[8:9], s[0:1]
	v_mul_f64 v[2:3], v[2:3], s[0:1]
	v_mov_b32_e32 v8, s3
	v_add_co_u32_e32 v6, vcc, s2, v6
	v_addc_co_u32_e32 v7, vcc, v7, v8, vcc
	global_store_dwordx2 v[6:7], v[4:5], off
	v_cvt_f32_f64_e32 v0, v[0:1]
	v_cvt_f32_f64_e32 v1, v[2:3]
	v_mov_b32_e32 v3, s3
	v_add_co_u32_e32 v2, vcc, s2, v6
	v_addc_co_u32_e32 v3, vcc, v7, v3, vcc
	global_store_dwordx2 v[2:3], v[0:1], off
.LBB0_23:
	s_endpgm
	.section	.rodata,"a",@progbits
	.p2align	6, 0x0
	.amdhsa_kernel bluestein_single_fwd_len420_dim1_sp_op_CI_CI
		.amdhsa_group_segment_fixed_size 3360
		.amdhsa_private_segment_fixed_size 0
		.amdhsa_kernarg_size 104
		.amdhsa_user_sgpr_count 6
		.amdhsa_user_sgpr_private_segment_buffer 1
		.amdhsa_user_sgpr_dispatch_ptr 0
		.amdhsa_user_sgpr_queue_ptr 0
		.amdhsa_user_sgpr_kernarg_segment_ptr 1
		.amdhsa_user_sgpr_dispatch_id 0
		.amdhsa_user_sgpr_flat_scratch_init 0
		.amdhsa_user_sgpr_private_segment_size 0
		.amdhsa_uses_dynamic_stack 0
		.amdhsa_system_sgpr_private_segment_wavefront_offset 0
		.amdhsa_system_sgpr_workgroup_id_x 1
		.amdhsa_system_sgpr_workgroup_id_y 0
		.amdhsa_system_sgpr_workgroup_id_z 0
		.amdhsa_system_sgpr_workgroup_info 0
		.amdhsa_system_vgpr_workitem_id 0
		.amdhsa_next_free_vgpr 96
		.amdhsa_next_free_sgpr 16
		.amdhsa_reserve_vcc 1
		.amdhsa_reserve_flat_scratch 0
		.amdhsa_float_round_mode_32 0
		.amdhsa_float_round_mode_16_64 0
		.amdhsa_float_denorm_mode_32 3
		.amdhsa_float_denorm_mode_16_64 3
		.amdhsa_dx10_clamp 1
		.amdhsa_ieee_mode 1
		.amdhsa_fp16_overflow 0
		.amdhsa_exception_fp_ieee_invalid_op 0
		.amdhsa_exception_fp_denorm_src 0
		.amdhsa_exception_fp_ieee_div_zero 0
		.amdhsa_exception_fp_ieee_overflow 0
		.amdhsa_exception_fp_ieee_underflow 0
		.amdhsa_exception_fp_ieee_inexact 0
		.amdhsa_exception_int_div_zero 0
	.end_amdhsa_kernel
	.text
.Lfunc_end0:
	.size	bluestein_single_fwd_len420_dim1_sp_op_CI_CI, .Lfunc_end0-bluestein_single_fwd_len420_dim1_sp_op_CI_CI
                                        ; -- End function
	.section	.AMDGPU.csdata,"",@progbits
; Kernel info:
; codeLenInByte = 8004
; NumSgprs: 20
; NumVgprs: 96
; ScratchSize: 0
; MemoryBound: 0
; FloatMode: 240
; IeeeMode: 1
; LDSByteSize: 3360 bytes/workgroup (compile time only)
; SGPRBlocks: 2
; VGPRBlocks: 23
; NumSGPRsForWavesPerEU: 20
; NumVGPRsForWavesPerEU: 96
; Occupancy: 2
; WaveLimiterHint : 1
; COMPUTE_PGM_RSRC2:SCRATCH_EN: 0
; COMPUTE_PGM_RSRC2:USER_SGPR: 6
; COMPUTE_PGM_RSRC2:TRAP_HANDLER: 0
; COMPUTE_PGM_RSRC2:TGID_X_EN: 1
; COMPUTE_PGM_RSRC2:TGID_Y_EN: 0
; COMPUTE_PGM_RSRC2:TGID_Z_EN: 0
; COMPUTE_PGM_RSRC2:TIDIG_COMP_CNT: 0
	.type	__hip_cuid_30125d8da9fb16c3,@object ; @__hip_cuid_30125d8da9fb16c3
	.section	.bss,"aw",@nobits
	.globl	__hip_cuid_30125d8da9fb16c3
__hip_cuid_30125d8da9fb16c3:
	.byte	0                               ; 0x0
	.size	__hip_cuid_30125d8da9fb16c3, 1

	.ident	"AMD clang version 19.0.0git (https://github.com/RadeonOpenCompute/llvm-project roc-6.4.0 25133 c7fe45cf4b819c5991fe208aaa96edf142730f1d)"
	.section	".note.GNU-stack","",@progbits
	.addrsig
	.addrsig_sym __hip_cuid_30125d8da9fb16c3
	.amdgpu_metadata
---
amdhsa.kernels:
  - .args:
      - .actual_access:  read_only
        .address_space:  global
        .offset:         0
        .size:           8
        .value_kind:     global_buffer
      - .actual_access:  read_only
        .address_space:  global
        .offset:         8
        .size:           8
        .value_kind:     global_buffer
      - .actual_access:  read_only
        .address_space:  global
        .offset:         16
        .size:           8
        .value_kind:     global_buffer
      - .actual_access:  read_only
        .address_space:  global
        .offset:         24
        .size:           8
        .value_kind:     global_buffer
      - .actual_access:  read_only
        .address_space:  global
        .offset:         32
        .size:           8
        .value_kind:     global_buffer
      - .offset:         40
        .size:           8
        .value_kind:     by_value
      - .address_space:  global
        .offset:         48
        .size:           8
        .value_kind:     global_buffer
      - .address_space:  global
        .offset:         56
        .size:           8
        .value_kind:     global_buffer
      - .address_space:  global
        .offset:         64
        .size:           8
        .value_kind:     global_buffer
      - .address_space:  global
        .offset:         72
        .size:           8
        .value_kind:     global_buffer
      - .offset:         80
        .size:           4
        .value_kind:     by_value
      - .address_space:  global
        .offset:         88
        .size:           8
        .value_kind:     global_buffer
      - .address_space:  global
        .offset:         96
        .size:           8
        .value_kind:     global_buffer
    .group_segment_fixed_size: 3360
    .kernarg_segment_align: 8
    .kernarg_segment_size: 104
    .language:       OpenCL C
    .language_version:
      - 2
      - 0
    .max_flat_workgroup_size: 60
    .name:           bluestein_single_fwd_len420_dim1_sp_op_CI_CI
    .private_segment_fixed_size: 0
    .sgpr_count:     20
    .sgpr_spill_count: 0
    .symbol:         bluestein_single_fwd_len420_dim1_sp_op_CI_CI.kd
    .uniform_work_group_size: 1
    .uses_dynamic_stack: false
    .vgpr_count:     96
    .vgpr_spill_count: 0
    .wavefront_size: 64
amdhsa.target:   amdgcn-amd-amdhsa--gfx906
amdhsa.version:
  - 1
  - 2
...

	.end_amdgpu_metadata
